;; amdgpu-corpus repo=ROCm/bitsandbytes kind=harvested arch=n/a opt=n/a
	.text
	.amdgcn_target "amdgcn-amd-amdhsa--gfx1100"
	.amdhsa_code_object_version 6
	.protected	_Z18kQuantizeBlockwiseI12hip_bfloat16Li4096ELi4ELi0ELi0EEvPfPT_S1_PhS1_ii ; -- Begin function _Z18kQuantizeBlockwiseI12hip_bfloat16Li4096ELi4ELi0ELi0EEvPfPT_S1_PhS1_ii
	.globl	_Z18kQuantizeBlockwiseI12hip_bfloat16Li4096ELi4ELi0ELi0EEvPfPT_S1_PhS1_ii
	.p2align	8
	.type	_Z18kQuantizeBlockwiseI12hip_bfloat16Li4096ELi4ELi0ELi0EEvPfPT_S1_PhS1_ii,@function
_Z18kQuantizeBlockwiseI12hip_bfloat16Li4096ELi4ELi0ELi0EEvPfPT_S1_PhS1_ii: ; @_Z18kQuantizeBlockwiseI12hip_bfloat16Li4096ELi4ELi0ELi0EEvPfPT_S1_PhS1_ii
; %bb.0:
	s_clause 0x1
	s_load_b64 s[4:5], s[0:1], 0x8
	s_load_b32 s6, s[0:1], 0x30
	v_lshlrev_b32_e32 v3, 2, v0
	s_add_u32 s2, s0, 48
	s_addc_u32 s3, s1, 0
	s_mov_b32 s7, exec_lo
	v_cmpx_gt_u32_e32 0x100, v0
	s_cbranch_execz .LBB134_3
; %bb.1:
	s_load_b64 s[8:9], s[0:1], 0x0
	s_load_b32 s2, s[2:3], 0xc
	v_dual_mov_b32 v5, v0 :: v_dual_add_nc_u32 v4, 0x3180, v3
	s_waitcnt lgkmcnt(0)
	v_add_co_u32 v1, s3, s8, v3
	s_delay_alu instid0(VALU_DEP_1)
	v_add_co_ci_u32_e64 v2, null, s9, 0, s3
	s_and_b32 s3, s2, 0xffff
	s_mov_b32 s8, 0
	s_lshl_b32 s9, s3, 2
.LBB134_2:                              ; =>This Inner Loop Header: Depth=1
	global_load_b32 v6, v[1:2], off
	v_add_nc_u32_e32 v5, s3, v5
	v_add_co_u32 v1, vcc_lo, v1, s9
	v_add_co_ci_u32_e32 v2, vcc_lo, 0, v2, vcc_lo
	s_delay_alu instid0(VALU_DEP_3) | instskip(NEXT) | instid1(VALU_DEP_1)
	v_cmp_lt_u32_e64 s2, 0xff, v5
	s_or_b32 s8, s2, s8
	s_waitcnt vmcnt(0)
	ds_store_b32 v4, v6
	v_add_nc_u32_e32 v4, s9, v4
	s_and_not1_b32 exec_lo, exec_lo, s8
	s_cbranch_execnz .LBB134_2
.LBB134_3:
	s_or_b32 exec_lo, exec_lo, s7
	s_waitcnt lgkmcnt(0)
	s_lshl_b32 s18, s6, 12
	s_lshl_b32 s16, s15, 12
	s_delay_alu instid0(SALU_CYCLE_1)
	s_cmp_ge_i32 s16, s18
	s_cbranch_scc1 .LBB134_68
; %bb.4:
	v_mbcnt_lo_u32_b32 v1, -1, 0
	v_dual_mov_b32 v35, 0 :: v_dual_and_b32 v2, 0xf80, v3
	s_clause 0x1
	s_load_b128 s[12:15], s[0:1], 0x10
	s_load_b32 s3, s[0:1], 0x2c
	v_and_b32_e32 v7, 0x3e0, v0
	v_dual_mov_b32 v38, 0xff :: v_dual_lshlrev_b32 v3, 1, v1
	v_lshlrev_b32_e32 v5, 1, v2
	v_or_b32_e32 v4, v1, v2
	v_lshrrev_b32_e32 v12, 5, v2
	s_delay_alu instid0(VALU_DEP_4) | instskip(NEXT) | instid1(VALU_DEP_1)
	v_add_co_u32 v3, s0, s4, v3
	v_add_co_ci_u32_e64 v6, null, s5, 0, s0
	s_delay_alu instid0(VALU_DEP_4) | instskip(NEXT) | instid1(VALU_DEP_3)
	v_or_b32_e32 v9, 64, v4
	v_add_co_u32 v5, vcc_lo, v3, v5
	s_delay_alu instid0(VALU_DEP_3)
	v_add_co_ci_u32_e32 v6, vcc_lo, 0, v6, vcc_lo
	v_cmp_ne_u32_e32 vcc_lo, 31, v1
	v_or_b32_e32 v3, v1, v7
	v_or_b32_e32 v10, 0x60, v4
	v_lshrrev_b32_e32 v29, 5, v9
	v_or_b32_e32 v8, 32, v4
	v_add_co_ci_u32_e32 v18, vcc_lo, 0, v1, vcc_lo
	v_cmp_gt_u32_e32 vcc_lo, 30, v1
	v_bfe_u32 v30, v3, 3, 27
	v_lshrrev_b32_e32 v32, 5, v10
	v_lshlrev_b32_e32 v3, 2, v3
	v_lshrrev_b32_e32 v28, 3, v0
	v_cndmask_b32_e64 v20, 0, 1, vcc_lo
	v_cmp_gt_u32_e32 vcc_lo, 28, v1
	v_and_b32_e32 v17, 0x7e, v30
	v_and_b32_e32 v30, 0x7c, v30
	v_add_lshl_u32 v15, v29, v9, 1
	v_lshlrev_b32_e32 v20, 1, v20
	v_cndmask_b32_e64 v21, 0, 1, vcc_lo
	v_cmp_gt_u32_e32 vcc_lo, 24, v1
	v_add_nc_u32_e32 v19, 1, v1
	v_add_nc_u32_e32 v27, 16, v1
	v_add_lshl_u32 v20, v20, v1, 2
	v_lshlrev_b32_e32 v23, 2, v21
	v_cndmask_b32_e64 v22, 0, 1, vcc_lo
	v_cmp_gt_u32_e32 vcc_lo, 16, v1
	v_add_nc_u32_e32 v21, 2, v1
	s_movk_i32 s1, 0x7c
	v_cmp_eq_u32_e64 s0, 0, v1
	v_lshlrev_b32_e32 v25, 3, v22
	v_cndmask_b32_e64 v24, 0, 1, vcc_lo
	v_add_lshl_u32 v22, v23, v1, 2
	v_add_nc_u32_e32 v23, 4, v1
	v_and_b32_e32 v31, 0x7c, v29
	v_lshl_or_b32 v29, v1, 2, 0x3580
	v_lshlrev_b32_e32 v26, 4, v24
	v_add_lshl_u32 v24, v25, v1, 2
	v_add_nc_u32_e32 v25, 8, v1
	v_add_nc_u32_e32 v11, v12, v4
	;; [unrolled: 1-line block ×3, first 2 shown]
	v_add_lshl_u32 v26, v26, v1, 2
	s_waitcnt lgkmcnt(0)
	v_add_co_u32 v1, s4, s14, v1
	v_and_b32_e32 v16, 0x7e, v32
	v_add_lshl_u32 v17, v17, v3, 1
	v_and_or_b32 v28, v28, s1, 0x3580
	v_cmp_gt_u32_e64 s1, 32, v0
	v_cmp_eq_u32_e64 s2, 0, v0
	v_add_nc_u32_e32 v30, v30, v3
	v_and_b32_e32 v0, 0x7c, v32
	v_add_co_ci_u32_e64 v3, null, s15, 0, s4
	v_add_co_u32 v33, vcc_lo, v1, v2
	v_lshlrev_b32_e32 v13, 1, v11
	v_lshlrev_b32_e32 v14, 1, v12
	v_add_lshl_u32 v16, v16, v10, 1
	v_lshlrev_b32_e32 v18, 2, v18
	v_add_nc_u32_e32 v31, v31, v9
	v_add_nc_u32_e32 v32, v0, v10
	v_add_co_ci_u32_e32 v34, vcc_lo, 0, v3, vcc_lo
	v_add_nc_u32_e64 v36, 0x3400, 0
	v_add_nc_u32_e64 v37, 0x3000, 0
	s_sub_i32 s14, s3, s16
	s_branch .LBB134_6
.LBB134_5:                              ;   in Loop: Header=BB134_6 Depth=1
	s_or_b32 exec_lo, exec_lo, s3
	s_add_i32 s16, s16, s18
	s_sub_i32 s14, s14, s18
	s_cmp_ge_i32 s16, s18
	s_cbranch_scc1 .LBB134_68
.LBB134_6:                              ; =>This Inner Loop Header: Depth=1
	s_ashr_i32 s17, s16, 31
	s_min_i32 s15, s14, 0x1000
	s_lshl_b64 s[4:5], s[16:17], 1
	v_cmp_gt_u32_e64 s3, s15, v4
	v_add_co_u32 v0, vcc_lo, v5, s4
	v_add_co_ci_u32_e32 v1, vcc_lo, s5, v6, vcc_lo
	s_waitcnt lgkmcnt(0)
	v_mov_b32_e32 v2, 0
	s_waitcnt_vscnt null, 0x0
	s_barrier
	buffer_gl0_inv
	s_and_saveexec_b32 s4, s3
	s_cbranch_execz .LBB134_8
; %bb.7:                                ;   in Loop: Header=BB134_6 Depth=1
	global_load_u16 v2, v[0:1], off
.LBB134_8:                              ;   in Loop: Header=BB134_6 Depth=1
	s_or_b32 exec_lo, exec_lo, s4
	v_cmp_gt_u32_e64 s4, s15, v8
	v_mov_b32_e32 v3, 0
	v_mov_b32_e32 v39, 0
	s_delay_alu instid0(VALU_DEP_3)
	s_and_saveexec_b32 s5, s4
	s_cbranch_execz .LBB134_10
; %bb.9:                                ;   in Loop: Header=BB134_6 Depth=1
	global_load_u16 v39, v[0:1], off offset:64
.LBB134_10:                             ;   in Loop: Header=BB134_6 Depth=1
	s_or_b32 exec_lo, exec_lo, s5
	v_cmp_gt_u32_e64 s5, s15, v9
	s_delay_alu instid0(VALU_DEP_1)
	s_and_saveexec_b32 s6, s5
	s_cbranch_execz .LBB134_12
; %bb.11:                               ;   in Loop: Header=BB134_6 Depth=1
	global_load_u16 v3, v[0:1], off offset:128
.LBB134_12:                             ;   in Loop: Header=BB134_6 Depth=1
	s_or_b32 exec_lo, exec_lo, s6
	v_cmp_gt_u32_e64 s6, s15, v10
	v_mov_b32_e32 v40, 0
	s_delay_alu instid0(VALU_DEP_2)
	s_and_saveexec_b32 s7, s6
	s_cbranch_execz .LBB134_14
; %bb.13:                               ;   in Loop: Header=BB134_6 Depth=1
	global_load_u16 v40, v[0:1], off offset:192
.LBB134_14:                             ;   in Loop: Header=BB134_6 Depth=1
	s_or_b32 exec_lo, exec_lo, s7
	s_waitcnt vmcnt(0)
	ds_store_b16 v13, v2
	ds_store_b16 v14, v39
	ds_store_b16 v15, v3
	ds_store_b16 v16, v40
	; wave barrier
	ds_load_b64 v[0:1], v17
	v_sub_nc_u32_e64 v2, s15, v7 clamp
	s_delay_alu instid0(VALU_DEP_1)
	v_cmp_lt_u32_e64 s10, v27, v2
	s_waitcnt lgkmcnt(0)
	v_lshlrev_b32_e32 v40, 16, v0
	v_and_b32_e32 v42, 0xffff0000, v0
	v_lshlrev_b32_e32 v41, 16, v1
	v_and_b32_e32 v39, 0xffff0000, v1
	s_delay_alu instid0(VALU_DEP_3) | instskip(NEXT) | instid1(VALU_DEP_1)
	v_max3_f32 v0, |v40|, 0xff7fffff, |v42|
	v_max3_f32 v0, v0, |v41|, |v39|
	ds_bpermute_b32 v1, v18, v0
	s_waitcnt lgkmcnt(0)
	v_cmp_lt_f32_e32 vcc_lo, v0, v1
	v_cndmask_b32_e32 v1, v0, v1, vcc_lo
	v_cmp_lt_u32_e32 vcc_lo, v19, v2
	s_delay_alu instid0(VALU_DEP_2) | instskip(SKIP_3) | instid1(VALU_DEP_1)
	v_cndmask_b32_e32 v1, v0, v1, vcc_lo
	ds_bpermute_b32 v3, v20, v1
	s_waitcnt lgkmcnt(0)
	v_cmp_lt_f32_e64 s7, v1, v3
	v_cndmask_b32_e64 v3, v1, v3, s7
	v_cmp_lt_u32_e64 s7, v21, v2
	s_delay_alu instid0(VALU_DEP_1) | instskip(SKIP_4) | instid1(VALU_DEP_1)
	v_cndmask_b32_e64 v1, v1, v3, s7
	s_or_b32 s7, vcc_lo, s7
	ds_bpermute_b32 v3, v22, v1
	s_waitcnt lgkmcnt(0)
	v_cmp_lt_f32_e64 s8, v1, v3
	v_cndmask_b32_e64 v3, v1, v3, s8
	v_cmp_lt_u32_e64 s8, v23, v2
	s_delay_alu instid0(VALU_DEP_1) | instskip(SKIP_4) | instid1(VALU_DEP_1)
	v_cndmask_b32_e64 v1, v1, v3, s8
	s_or_b32 s7, s8, s7
	ds_bpermute_b32 v3, v24, v1
	s_waitcnt lgkmcnt(0)
	v_cmp_lt_f32_e64 s9, v1, v3
	v_cndmask_b32_e64 v3, v1, v3, s9
	v_cmp_lt_u32_e64 s9, v25, v2
	s_delay_alu instid0(VALU_DEP_1) | instskip(SKIP_4) | instid1(VALU_DEP_1)
	v_cndmask_b32_e64 v1, v1, v3, s9
	s_or_b32 s7, s9, s7
	ds_bpermute_b32 v3, v26, v1
	s_waitcnt lgkmcnt(0)
	v_cmp_lt_f32_e64 s11, v1, v3
	s_and_b32 vcc_lo, s10, s11
	v_cndmask_b32_e32 v1, v1, v3, vcc_lo
	s_or_b32 vcc_lo, s10, s7
	s_delay_alu instid0(VALU_DEP_1)
	v_cndmask_b32_e32 v0, v0, v1, vcc_lo
	s_and_saveexec_b32 s7, s0
	s_cbranch_execz .LBB134_16
; %bb.15:                               ;   in Loop: Header=BB134_6 Depth=1
	ds_store_b32 v28, v0
.LBB134_16:                             ;   in Loop: Header=BB134_6 Depth=1
	s_or_b32 exec_lo, exec_lo, s7
	s_waitcnt lgkmcnt(0)
	s_barrier
	buffer_gl0_inv
	s_and_saveexec_b32 s19, s1
	s_cbranch_execz .LBB134_18
; %bb.17:                               ;   in Loop: Header=BB134_6 Depth=1
	ds_load_b32 v0, v29
	s_add_i32 s15, s15, 31
	s_delay_alu instid0(SALU_CYCLE_1)
	s_lshr_b32 s10, s15, 5
	s_waitcnt lgkmcnt(0)
	ds_bpermute_b32 v1, v18, v0
	s_waitcnt lgkmcnt(0)
	v_cmp_lt_f32_e32 vcc_lo, v0, v1
	v_cndmask_b32_e32 v1, v0, v1, vcc_lo
	v_cmp_gt_u32_e32 vcc_lo, s10, v19
	s_delay_alu instid0(VALU_DEP_2) | instskip(SKIP_3) | instid1(VALU_DEP_1)
	v_cndmask_b32_e32 v1, v0, v1, vcc_lo
	ds_bpermute_b32 v2, v20, v1
	s_waitcnt lgkmcnt(0)
	v_cmp_lt_f32_e64 s7, v1, v2
	v_cndmask_b32_e64 v2, v1, v2, s7
	v_cmp_gt_u32_e64 s7, s10, v21
	s_delay_alu instid0(VALU_DEP_1) | instskip(SKIP_4) | instid1(VALU_DEP_1)
	v_cndmask_b32_e64 v1, v1, v2, s7
	s_or_b32 s7, vcc_lo, s7
	ds_bpermute_b32 v2, v22, v1
	s_waitcnt lgkmcnt(0)
	v_cmp_lt_f32_e64 s8, v1, v2
	v_cndmask_b32_e64 v2, v1, v2, s8
	v_cmp_gt_u32_e64 s8, s10, v23
	s_delay_alu instid0(VALU_DEP_1) | instskip(SKIP_4) | instid1(VALU_DEP_1)
	v_cndmask_b32_e64 v1, v1, v2, s8
	s_or_b32 s7, s8, s7
	ds_bpermute_b32 v2, v24, v1
	s_waitcnt lgkmcnt(0)
	v_cmp_lt_f32_e64 s9, v1, v2
	v_cndmask_b32_e64 v2, v1, v2, s9
	v_cmp_gt_u32_e64 s9, s10, v25
	v_cmp_gt_u32_e64 s10, s10, v27
	s_delay_alu instid0(VALU_DEP_2) | instskip(SKIP_4) | instid1(VALU_DEP_1)
	v_cndmask_b32_e64 v1, v1, v2, s9
	s_or_b32 s7, s9, s7
	ds_bpermute_b32 v2, v26, v1
	s_waitcnt lgkmcnt(0)
	v_cmp_lt_f32_e64 s11, v1, v2
	s_and_b32 vcc_lo, s10, s11
	v_cndmask_b32_e32 v1, v1, v2, vcc_lo
	s_or_b32 vcc_lo, s10, s7
	s_delay_alu instid0(VALU_DEP_1)
	v_cndmask_b32_e32 v0, v0, v1, vcc_lo
.LBB134_18:                             ;   in Loop: Header=BB134_6 Depth=1
	s_or_b32 exec_lo, exec_lo, s19
	s_and_saveexec_b32 s7, s2
	s_cbranch_execz .LBB134_20
; %bb.19:                               ;   in Loop: Header=BB134_6 Depth=1
	s_delay_alu instid0(VALU_DEP_1) | instskip(SKIP_2) | instid1(VALU_DEP_2)
	v_div_scale_f32 v1, null, v0, v0, 1.0
	v_div_scale_f32 v43, vcc_lo, 1.0, v0, 1.0
	s_ashr_i32 s8, s16, 12
	v_rcp_f32_e32 v2, v1
	s_ashr_i32 s9, s8, 31
	s_delay_alu instid0(SALU_CYCLE_1) | instskip(NEXT) | instid1(SALU_CYCLE_1)
	s_lshl_b64 s[8:9], s[8:9], 2
	s_add_u32 s8, s12, s8
	s_addc_u32 s9, s13, s9
	global_store_b32 v35, v0, s[8:9]
	v_fma_f32 v3, -v1, v2, 1.0
	s_delay_alu instid0(VALU_DEP_1) | instskip(NEXT) | instid1(VALU_DEP_1)
	v_fmac_f32_e32 v2, v3, v2
	v_mul_f32_e32 v3, v43, v2
	s_delay_alu instid0(VALU_DEP_1) | instskip(NEXT) | instid1(VALU_DEP_1)
	v_fma_f32 v44, -v1, v3, v43
	v_fmac_f32_e32 v3, v44, v2
	s_delay_alu instid0(VALU_DEP_1) | instskip(NEXT) | instid1(VALU_DEP_1)
	v_fma_f32 v1, -v1, v3, v43
	v_div_fmas_f32 v1, v1, v2, v3
	s_delay_alu instid0(VALU_DEP_1)
	v_div_fixup_f32 v1, v1, v0, 1.0
	ds_store_b32 v35, v1 offset:13824
.LBB134_20:                             ;   in Loop: Header=BB134_6 Depth=1
	s_or_b32 exec_lo, exec_lo, s7
	s_waitcnt lgkmcnt(0)
	s_waitcnt_vscnt null, 0x0
	s_barrier
	buffer_gl0_inv
	ds_load_2addr_b32 v[0:1], v36 offset0:95 offset1:128
	ds_load_2addr_b32 v[2:3], v37 offset0:96 offset1:223
	s_mov_b32 s9, exec_lo
	v_mov_b32_e32 v47, -16
	s_waitcnt lgkmcnt(1)
	v_mul_f32_e32 v43, v1, v40
	s_waitcnt lgkmcnt(0)
	s_delay_alu instid0(VALU_DEP_1) | instskip(SKIP_3) | instid1(VALU_DEP_3)
	v_cmp_lt_f32_e32 vcc_lo, v3, v43
	v_cndmask_b32_e64 v48, 63, 0xbf, vcc_lo
	v_cndmask_b32_e32 v51, -1.0, v3, vcc_lo
	v_cndmask_b32_e64 v44, 0, 0x7f, vcc_lo
	v_lshlrev_b32_e32 v40, 2, v48
	ds_load_b32 v50, v40 offset:12672
	v_add_nc_u32_e32 v40, 0x3180, v40
	s_waitcnt lgkmcnt(0)
	v_cmp_lt_f32_e64 s7, v50, v43
	s_delay_alu instid0(VALU_DEP_1) | instskip(SKIP_2) | instid1(VALU_DEP_3)
	v_cndmask_b32_e64 v45, 0xffffffe0, 32, s7
	v_cndmask_b32_e64 v49, v44, v48, s7
	;; [unrolled: 1-line block ×3, first 2 shown]
	v_lshl_add_u32 v46, v45, 2, v40
	v_add_nc_u32_e32 v45, v48, v45
	ds_load_b32 v40, v46
	v_mov_b32_e32 v44, v45
	s_waitcnt lgkmcnt(0)
	v_cmpx_lt_f32_e32 v40, v43
; %bb.21:                               ;   in Loop: Header=BB134_6 Depth=1
	v_cndmask_b32_e64 v44, v3, 1.0, vcc_lo
	v_mov_b32_e32 v49, v45
	v_mov_b32_e32 v51, v40
	s_delay_alu instid0(VALU_DEP_3) | instskip(NEXT) | instid1(VALU_DEP_1)
	v_cndmask_b32_e64 v50, v50, v44, s7
	v_dual_cndmask_b32 v47, 0x7f, v38 :: v_dual_mov_b32 v40, v50
	s_delay_alu instid0(VALU_DEP_1)
	v_cndmask_b32_e64 v44, v48, v47, s7
	v_mov_b32_e32 v47, 16
; %bb.22:                               ;   in Loop: Header=BB134_6 Depth=1
	s_or_b32 exec_lo, exec_lo, s9
	s_delay_alu instid0(VALU_DEP_1)
	v_lshl_add_u32 v46, v47, 2, v46
	v_add_nc_u32_e32 v53, v47, v45
	s_mov_b32 s8, exec_lo
	ds_load_b32 v52, v46
	s_waitcnt lgkmcnt(0)
	v_cmp_lt_f32_e32 vcc_lo, v52, v43
	v_cndmask_b32_e64 v50, -8, 8, vcc_lo
	v_cndmask_b32_e32 v51, v51, v52, vcc_lo
	s_delay_alu instid0(VALU_DEP_2)
	v_lshl_add_u32 v48, v50, 2, v46
	v_dual_mov_b32 v50, -4 :: v_dual_add_nc_u32 v45, v50, v53
	v_cndmask_b32_e32 v49, v49, v53, vcc_lo
	ds_load_b32 v46, v48
	v_mov_b32_e32 v47, v45
	s_waitcnt lgkmcnt(0)
	v_cmpx_lt_f32_e32 v46, v43
; %bb.23:                               ;   in Loop: Header=BB134_6 Depth=1
	v_dual_cndmask_b32 v40, v52, v40 :: v_dual_mov_b32 v49, v45
	v_dual_cndmask_b32 v47, v53, v44 :: v_dual_mov_b32 v50, 4
	s_delay_alu instid0(VALU_DEP_2)
	v_dual_mov_b32 v51, v46 :: v_dual_mov_b32 v46, v40
; %bb.24:                               ;   in Loop: Header=BB134_6 Depth=1
	s_or_b32 exec_lo, exec_lo, s8
	s_delay_alu instid0(VALU_DEP_2)
	v_lshl_add_u32 v40, v50, 2, v48
	v_add_nc_u32_e32 v54, v50, v45
	s_mov_b32 s8, exec_lo
	ds_load_b32 v53, v40
	s_waitcnt lgkmcnt(0)
	v_cmp_lt_f32_e32 vcc_lo, v53, v43
	v_cndmask_b32_e64 v48, -2, 2, vcc_lo
	s_delay_alu instid0(VALU_DEP_1)
	v_lshl_add_u32 v40, v48, 2, v40
	v_add_nc_u32_e32 v50, v48, v54
	v_dual_cndmask_b32 v48, v49, v54 :: v_dual_cndmask_b32 v49, v51, v53
	v_mov_b32_e32 v52, -1
	ds_load_b32 v44, v40
	v_mov_b32_e32 v45, v50
	s_waitcnt lgkmcnt(0)
	v_cmpx_lt_f32_e32 v44, v43
; %bb.25:                               ;   in Loop: Header=BB134_6 Depth=1
	v_dual_cndmask_b32 v46, v53, v46 :: v_dual_cndmask_b32 v45, v54, v47
	v_dual_mov_b32 v52, 1 :: v_dual_mov_b32 v49, v44
	v_mov_b32_e32 v48, v50
	s_delay_alu instid0(VALU_DEP_3)
	v_mov_b32_e32 v44, v46
; %bb.26:                               ;   in Loop: Header=BB134_6 Depth=1
	s_or_b32 exec_lo, exec_lo, s8
	s_delay_alu instid0(VALU_DEP_3)
	v_lshl_add_u32 v40, v52, 2, v40
	v_add_nc_u32_e32 v46, v52, v50
	s_mov_b32 s7, exec_lo
	ds_load_b32 v47, v40
                                        ; implicit-def: $vgpr40
	s_waitcnt lgkmcnt(0)
	v_cmpx_nlt_f32_e32 v47, v43
	s_xor_b32 s7, exec_lo, s7
; %bb.27:                               ;   in Loop: Header=BB134_6 Depth=1
	v_cmp_eq_u32_e32 vcc_lo, 0, v48
                                        ; implicit-def: $vgpr45
                                        ; implicit-def: $vgpr44
	v_cndmask_b32_e32 v40, v49, v2, vcc_lo
	s_delay_alu instid0(VALU_DEP_1) | instskip(NEXT) | instid1(VALU_DEP_1)
	v_add_f32_e32 v40, v47, v40
                                        ; implicit-def: $vgpr47
	v_mul_f32_e32 v40, 0.5, v40
	s_delay_alu instid0(VALU_DEP_1)
	v_cmp_gt_f32_e32 vcc_lo, v40, v43
                                        ; implicit-def: $vgpr43
	v_cndmask_b32_e32 v40, v46, v48, vcc_lo
                                        ; implicit-def: $vgpr46
; %bb.28:                               ;   in Loop: Header=BB134_6 Depth=1
	s_and_not1_saveexec_b32 s7, s7
; %bb.29:                               ;   in Loop: Header=BB134_6 Depth=1
	v_cmp_eq_u32_e32 vcc_lo, 0xff, v45
	v_cndmask_b32_e32 v40, v44, v0, vcc_lo
	s_delay_alu instid0(VALU_DEP_1) | instskip(NEXT) | instid1(VALU_DEP_1)
	v_add_f32_e32 v40, v47, v40
	v_mul_f32_e32 v40, 0.5, v40
	s_delay_alu instid0(VALU_DEP_1)
	v_cmp_lt_f32_e32 vcc_lo, v40, v43
	v_cndmask_b32_e32 v40, v46, v45, vcc_lo
; %bb.30:                               ;   in Loop: Header=BB134_6 Depth=1
	s_or_b32 exec_lo, exec_lo, s7
	v_mul_f32_e32 v43, v1, v42
	s_mov_b32 s9, exec_lo
	s_delay_alu instid0(VALU_DEP_1) | instskip(SKIP_2) | instid1(VALU_DEP_2)
	v_cmp_lt_f32_e32 vcc_lo, v3, v43
	v_cndmask_b32_e64 v48, 63, 0xbf, vcc_lo
	v_cndmask_b32_e64 v44, 0, 0x7f, vcc_lo
	v_dual_cndmask_b32 v51, -1.0, v3 :: v_dual_lshlrev_b32 v42, 2, v48
	ds_load_b32 v50, v42 offset:12672
	v_add_nc_u32_e32 v42, 0x3180, v42
	s_waitcnt lgkmcnt(0)
	v_cmp_lt_f32_e64 s7, v50, v43
	s_delay_alu instid0(VALU_DEP_1) | instskip(SKIP_2) | instid1(VALU_DEP_3)
	v_cndmask_b32_e64 v45, 0xffffffe0, 32, s7
	v_cndmask_b32_e64 v49, v44, v48, s7
	;; [unrolled: 1-line block ×3, first 2 shown]
	v_lshl_add_u32 v46, v45, 2, v42
	v_add_nc_u32_e32 v45, v48, v45
	v_mov_b32_e32 v47, -16
	ds_load_b32 v42, v46
	v_mov_b32_e32 v44, v45
	s_waitcnt lgkmcnt(0)
	v_cmpx_lt_f32_e32 v42, v43
; %bb.31:                               ;   in Loop: Header=BB134_6 Depth=1
	v_cndmask_b32_e64 v44, v3, 1.0, vcc_lo
	v_mov_b32_e32 v49, v45
	v_mov_b32_e32 v51, v42
	s_delay_alu instid0(VALU_DEP_3) | instskip(NEXT) | instid1(VALU_DEP_1)
	v_cndmask_b32_e64 v50, v50, v44, s7
	v_dual_cndmask_b32 v47, 0x7f, v38 :: v_dual_mov_b32 v42, v50
	s_delay_alu instid0(VALU_DEP_1)
	v_cndmask_b32_e64 v44, v48, v47, s7
	v_mov_b32_e32 v47, 16
; %bb.32:                               ;   in Loop: Header=BB134_6 Depth=1
	s_or_b32 exec_lo, exec_lo, s9
	s_delay_alu instid0(VALU_DEP_1)
	v_lshl_add_u32 v46, v47, 2, v46
	v_add_nc_u32_e32 v53, v47, v45
	s_mov_b32 s8, exec_lo
	ds_load_b32 v52, v46
	s_waitcnt lgkmcnt(0)
	v_cmp_lt_f32_e32 vcc_lo, v52, v43
	v_cndmask_b32_e64 v50, -8, 8, vcc_lo
	v_cndmask_b32_e32 v51, v51, v52, vcc_lo
	s_delay_alu instid0(VALU_DEP_2)
	v_lshl_add_u32 v48, v50, 2, v46
	v_dual_mov_b32 v50, -4 :: v_dual_add_nc_u32 v45, v50, v53
	v_cndmask_b32_e32 v49, v49, v53, vcc_lo
	ds_load_b32 v46, v48
	v_mov_b32_e32 v47, v45
	s_waitcnt lgkmcnt(0)
	v_cmpx_lt_f32_e32 v46, v43
; %bb.33:                               ;   in Loop: Header=BB134_6 Depth=1
	v_dual_cndmask_b32 v42, v52, v42 :: v_dual_cndmask_b32 v47, v53, v44
	v_dual_mov_b32 v50, 4 :: v_dual_mov_b32 v49, v45
	v_mov_b32_e32 v51, v46
	s_delay_alu instid0(VALU_DEP_3)
	v_mov_b32_e32 v46, v42
; %bb.34:                               ;   in Loop: Header=BB134_6 Depth=1
	s_or_b32 exec_lo, exec_lo, s8
	s_delay_alu instid0(VALU_DEP_3)
	v_lshl_add_u32 v42, v50, 2, v48
	v_add_nc_u32_e32 v54, v50, v45
	s_mov_b32 s8, exec_lo
	ds_load_b32 v53, v42
	s_waitcnt lgkmcnt(0)
	v_cmp_lt_f32_e32 vcc_lo, v53, v43
	v_cndmask_b32_e64 v48, -2, 2, vcc_lo
	s_delay_alu instid0(VALU_DEP_1)
	v_lshl_add_u32 v42, v48, 2, v42
	v_add_nc_u32_e32 v50, v48, v54
	v_dual_cndmask_b32 v48, v49, v54 :: v_dual_cndmask_b32 v49, v51, v53
	v_mov_b32_e32 v52, -1
	ds_load_b32 v44, v42
	v_mov_b32_e32 v45, v50
	s_waitcnt lgkmcnt(0)
	v_cmpx_lt_f32_e32 v44, v43
; %bb.35:                               ;   in Loop: Header=BB134_6 Depth=1
	v_dual_cndmask_b32 v46, v53, v46 :: v_dual_cndmask_b32 v45, v54, v47
	v_dual_mov_b32 v52, 1 :: v_dual_mov_b32 v49, v44
	v_mov_b32_e32 v48, v50
	s_delay_alu instid0(VALU_DEP_3)
	v_mov_b32_e32 v44, v46
; %bb.36:                               ;   in Loop: Header=BB134_6 Depth=1
	s_or_b32 exec_lo, exec_lo, s8
	s_delay_alu instid0(VALU_DEP_3)
	v_lshl_add_u32 v42, v52, 2, v42
	v_add_nc_u32_e32 v46, v52, v50
	s_mov_b32 s7, exec_lo
	ds_load_b32 v47, v42
                                        ; implicit-def: $vgpr42
	s_waitcnt lgkmcnt(0)
	v_cmpx_nlt_f32_e32 v47, v43
	s_xor_b32 s7, exec_lo, s7
; %bb.37:                               ;   in Loop: Header=BB134_6 Depth=1
	v_cmp_eq_u32_e32 vcc_lo, 0, v48
                                        ; implicit-def: $vgpr45
                                        ; implicit-def: $vgpr44
	v_cndmask_b32_e32 v42, v49, v2, vcc_lo
	s_delay_alu instid0(VALU_DEP_1) | instskip(NEXT) | instid1(VALU_DEP_1)
	v_add_f32_e32 v42, v47, v42
                                        ; implicit-def: $vgpr47
	v_mul_f32_e32 v42, 0.5, v42
	s_delay_alu instid0(VALU_DEP_1)
	v_cmp_gt_f32_e32 vcc_lo, v42, v43
                                        ; implicit-def: $vgpr43
	v_cndmask_b32_e32 v42, v46, v48, vcc_lo
                                        ; implicit-def: $vgpr46
; %bb.38:                               ;   in Loop: Header=BB134_6 Depth=1
	s_and_not1_saveexec_b32 s7, s7
; %bb.39:                               ;   in Loop: Header=BB134_6 Depth=1
	v_cmp_eq_u32_e32 vcc_lo, 0xff, v45
	v_cndmask_b32_e32 v42, v44, v0, vcc_lo
	s_delay_alu instid0(VALU_DEP_1) | instskip(NEXT) | instid1(VALU_DEP_1)
	v_add_f32_e32 v42, v47, v42
	v_mul_f32_e32 v42, 0.5, v42
	s_delay_alu instid0(VALU_DEP_1)
	v_cmp_lt_f32_e32 vcc_lo, v42, v43
	v_cndmask_b32_e32 v42, v46, v45, vcc_lo
; %bb.40:                               ;   in Loop: Header=BB134_6 Depth=1
	s_or_b32 exec_lo, exec_lo, s7
	v_mul_f32_e32 v43, v1, v41
	v_mov_b32_e32 v47, -16
	s_mov_b32 s9, exec_lo
	s_delay_alu instid0(VALU_DEP_2) | instskip(SKIP_3) | instid1(VALU_DEP_3)
	v_cmp_lt_f32_e32 vcc_lo, v3, v43
	v_cndmask_b32_e64 v48, 63, 0xbf, vcc_lo
	v_cndmask_b32_e64 v44, 0, 0x7f, vcc_lo
	v_cndmask_b32_e32 v51, -1.0, v3, vcc_lo
	v_lshlrev_b32_e32 v41, 2, v48
	ds_load_b32 v50, v41 offset:12672
	v_add_nc_u32_e32 v41, 0x3180, v41
	s_waitcnt lgkmcnt(0)
	v_cmp_lt_f32_e64 s7, v50, v43
	s_delay_alu instid0(VALU_DEP_1) | instskip(SKIP_2) | instid1(VALU_DEP_3)
	v_cndmask_b32_e64 v45, 0xffffffe0, 32, s7
	v_cndmask_b32_e64 v49, v44, v48, s7
	;; [unrolled: 1-line block ×3, first 2 shown]
	v_lshl_add_u32 v46, v45, 2, v41
	v_add_nc_u32_e32 v45, v48, v45
	ds_load_b32 v41, v46
	v_mov_b32_e32 v44, v45
	s_waitcnt lgkmcnt(0)
	v_cmpx_lt_f32_e32 v41, v43
; %bb.41:                               ;   in Loop: Header=BB134_6 Depth=1
	v_cndmask_b32_e64 v44, v3, 1.0, vcc_lo
	v_cndmask_b32_e32 v47, 0x7f, v38, vcc_lo
	v_mov_b32_e32 v49, v45
	v_mov_b32_e32 v51, v41
	s_delay_alu instid0(VALU_DEP_4) | instskip(NEXT) | instid1(VALU_DEP_4)
	v_cndmask_b32_e64 v50, v50, v44, s7
	v_cndmask_b32_e64 v44, v48, v47, s7
	v_mov_b32_e32 v47, 16
	s_delay_alu instid0(VALU_DEP_3)
	v_mov_b32_e32 v41, v50
; %bb.42:                               ;   in Loop: Header=BB134_6 Depth=1
	s_or_b32 exec_lo, exec_lo, s9
	s_delay_alu instid0(VALU_DEP_2)
	v_lshl_add_u32 v46, v47, 2, v46
	v_add_nc_u32_e32 v53, v47, v45
	s_mov_b32 s8, exec_lo
	ds_load_b32 v52, v46
	s_waitcnt lgkmcnt(0)
	v_cmp_lt_f32_e32 vcc_lo, v52, v43
	v_cndmask_b32_e64 v50, -8, 8, vcc_lo
	v_cndmask_b32_e32 v51, v51, v52, vcc_lo
	s_delay_alu instid0(VALU_DEP_2)
	v_lshl_add_u32 v48, v50, 2, v46
	v_dual_mov_b32 v50, -4 :: v_dual_add_nc_u32 v45, v50, v53
	v_cndmask_b32_e32 v49, v49, v53, vcc_lo
	ds_load_b32 v46, v48
	v_mov_b32_e32 v47, v45
	s_waitcnt lgkmcnt(0)
	v_cmpx_lt_f32_e32 v46, v43
; %bb.43:                               ;   in Loop: Header=BB134_6 Depth=1
	v_dual_cndmask_b32 v41, v52, v41 :: v_dual_mov_b32 v50, 4
	v_cndmask_b32_e32 v47, v53, v44, vcc_lo
	v_mov_b32_e32 v49, v45
	s_delay_alu instid0(VALU_DEP_3)
	v_dual_mov_b32 v51, v46 :: v_dual_mov_b32 v46, v41
; %bb.44:                               ;   in Loop: Header=BB134_6 Depth=1
	s_or_b32 exec_lo, exec_lo, s8
	v_lshl_add_u32 v41, v50, 2, v48
	v_add_nc_u32_e32 v54, v50, v45
	s_mov_b32 s8, exec_lo
	ds_load_b32 v53, v41
	s_waitcnt lgkmcnt(0)
	v_cmp_lt_f32_e32 vcc_lo, v53, v43
	v_cndmask_b32_e64 v48, -2, 2, vcc_lo
	s_delay_alu instid0(VALU_DEP_1)
	v_lshl_add_u32 v41, v48, 2, v41
	v_add_nc_u32_e32 v50, v48, v54
	v_dual_cndmask_b32 v48, v49, v54 :: v_dual_cndmask_b32 v49, v51, v53
	v_mov_b32_e32 v52, -1
	ds_load_b32 v44, v41
	v_mov_b32_e32 v45, v50
	s_waitcnt lgkmcnt(0)
	v_cmpx_lt_f32_e32 v44, v43
; %bb.45:                               ;   in Loop: Header=BB134_6 Depth=1
	v_dual_cndmask_b32 v46, v53, v46 :: v_dual_cndmask_b32 v45, v54, v47
	v_dual_mov_b32 v52, 1 :: v_dual_mov_b32 v49, v44
	v_mov_b32_e32 v48, v50
	s_delay_alu instid0(VALU_DEP_3)
	v_mov_b32_e32 v44, v46
; %bb.46:                               ;   in Loop: Header=BB134_6 Depth=1
	s_or_b32 exec_lo, exec_lo, s8
	s_delay_alu instid0(VALU_DEP_3)
	v_lshl_add_u32 v41, v52, 2, v41
	v_add_nc_u32_e32 v46, v52, v50
	s_mov_b32 s7, exec_lo
	ds_load_b32 v47, v41
                                        ; implicit-def: $vgpr41
	s_waitcnt lgkmcnt(0)
	v_cmpx_nlt_f32_e32 v47, v43
	s_xor_b32 s7, exec_lo, s7
; %bb.47:                               ;   in Loop: Header=BB134_6 Depth=1
	v_cmp_eq_u32_e32 vcc_lo, 0, v48
                                        ; implicit-def: $vgpr45
                                        ; implicit-def: $vgpr44
	v_cndmask_b32_e32 v41, v49, v2, vcc_lo
	s_delay_alu instid0(VALU_DEP_1) | instskip(NEXT) | instid1(VALU_DEP_1)
	v_add_f32_e32 v41, v47, v41
                                        ; implicit-def: $vgpr47
	v_mul_f32_e32 v41, 0.5, v41
	s_delay_alu instid0(VALU_DEP_1)
	v_cmp_gt_f32_e32 vcc_lo, v41, v43
                                        ; implicit-def: $vgpr43
	v_cndmask_b32_e32 v41, v46, v48, vcc_lo
                                        ; implicit-def: $vgpr46
; %bb.48:                               ;   in Loop: Header=BB134_6 Depth=1
	s_and_not1_saveexec_b32 s7, s7
; %bb.49:                               ;   in Loop: Header=BB134_6 Depth=1
	v_cmp_eq_u32_e32 vcc_lo, 0xff, v45
	v_cndmask_b32_e32 v41, v44, v0, vcc_lo
	s_delay_alu instid0(VALU_DEP_1) | instskip(NEXT) | instid1(VALU_DEP_1)
	v_add_f32_e32 v41, v47, v41
	v_mul_f32_e32 v41, 0.5, v41
	s_delay_alu instid0(VALU_DEP_1)
	v_cmp_lt_f32_e32 vcc_lo, v41, v43
	v_cndmask_b32_e32 v41, v46, v45, vcc_lo
; %bb.50:                               ;   in Loop: Header=BB134_6 Depth=1
	s_or_b32 exec_lo, exec_lo, s7
	v_dual_mul_f32 v1, v1, v39 :: v_dual_mov_b32 v46, -16
	s_mov_b32 s9, exec_lo
	s_delay_alu instid0(VALU_DEP_1) | instskip(SKIP_2) | instid1(VALU_DEP_2)
	v_cmp_lt_f32_e32 vcc_lo, v3, v1
	v_cndmask_b32_e64 v48, 63, 0xbf, vcc_lo
	v_cndmask_b32_e64 v44, 0, 0x7f, vcc_lo
	v_dual_cndmask_b32 v50, -1.0, v3 :: v_dual_lshlrev_b32 v39, 2, v48
	ds_load_b32 v49, v39 offset:12672
	v_add_nc_u32_e32 v39, 0x3180, v39
	s_waitcnt lgkmcnt(0)
	v_cmp_lt_f32_e64 s7, v49, v1
	s_delay_alu instid0(VALU_DEP_1) | instskip(SKIP_2) | instid1(VALU_DEP_3)
	v_cndmask_b32_e64 v45, 0xffffffe0, 32, s7
	v_cndmask_b32_e64 v47, v44, v48, s7
	;; [unrolled: 1-line block ×3, first 2 shown]
	v_lshl_add_u32 v43, v45, 2, v39
	v_add_nc_u32_e32 v45, v48, v45
	ds_load_b32 v39, v43
	v_mov_b32_e32 v44, v45
	s_waitcnt lgkmcnt(0)
	v_cmpx_lt_f32_e32 v39, v1
; %bb.51:                               ;   in Loop: Header=BB134_6 Depth=1
	v_cndmask_b32_e64 v3, v3, 1.0, vcc_lo
	v_dual_cndmask_b32 v44, 0x7f, v38 :: v_dual_mov_b32 v47, v45
	v_mov_b32_e32 v50, v39
	s_delay_alu instid0(VALU_DEP_3) | instskip(NEXT) | instid1(VALU_DEP_3)
	v_cndmask_b32_e64 v3, v49, v3, s7
	v_cndmask_b32_e64 v44, v48, v44, s7
	s_delay_alu instid0(VALU_DEP_2)
	v_dual_mov_b32 v46, 16 :: v_dual_mov_b32 v39, v3
; %bb.52:                               ;   in Loop: Header=BB134_6 Depth=1
	s_or_b32 exec_lo, exec_lo, s9
	s_delay_alu instid0(VALU_DEP_1)
	v_lshl_add_u32 v3, v46, 2, v43
	v_add_nc_u32_e32 v52, v46, v45
	s_mov_b32 s8, exec_lo
	ds_load_b32 v51, v3
	s_waitcnt lgkmcnt(0)
	v_cmp_lt_f32_e32 vcc_lo, v51, v1
	v_cndmask_b32_e64 v48, -8, 8, vcc_lo
	v_dual_cndmask_b32 v50, v50, v51 :: v_dual_cndmask_b32 v49, v47, v52
	s_delay_alu instid0(VALU_DEP_2)
	v_lshl_add_u32 v3, v48, 2, v3
	v_add_nc_u32_e32 v46, v48, v52
	v_mov_b32_e32 v48, -4
	ds_load_b32 v43, v3
	v_mov_b32_e32 v45, v46
	s_waitcnt lgkmcnt(0)
	v_cmpx_lt_f32_e32 v43, v1
; %bb.53:                               ;   in Loop: Header=BB134_6 Depth=1
	v_dual_cndmask_b32 v39, v51, v39 :: v_dual_mov_b32 v48, 4
	v_dual_cndmask_b32 v45, v52, v44 :: v_dual_mov_b32 v50, v43
	v_mov_b32_e32 v49, v46
	s_delay_alu instid0(VALU_DEP_3)
	v_mov_b32_e32 v43, v39
; %bb.54:                               ;   in Loop: Header=BB134_6 Depth=1
	s_or_b32 exec_lo, exec_lo, s8
	v_lshl_add_u32 v3, v48, 2, v3
	s_mov_b32 s8, exec_lo
	v_mov_b32_e32 v51, -1
	ds_load_b32 v52, v3
	s_waitcnt lgkmcnt(0)
	v_cmp_lt_f32_e32 vcc_lo, v52, v1
	v_dual_cndmask_b32 v46, v50, v52 :: v_dual_add_nc_u32 v53, v48, v46
	v_cndmask_b32_e64 v39, -2, 2, vcc_lo
	s_delay_alu instid0(VALU_DEP_1) | instskip(NEXT) | instid1(VALU_DEP_3)
	v_lshl_add_u32 v47, v39, 2, v3
	v_add_nc_u32_e32 v48, v39, v53
	v_cndmask_b32_e32 v44, v49, v53, vcc_lo
	ds_load_b32 v3, v47
	v_mov_b32_e32 v39, v48
	s_waitcnt lgkmcnt(0)
	v_cmpx_lt_f32_e32 v3, v1
; %bb.55:                               ;   in Loop: Header=BB134_6 Depth=1
	v_dual_cndmask_b32 v43, v52, v43 :: v_dual_mov_b32 v46, v3
	v_dual_cndmask_b32 v39, v53, v45 :: v_dual_mov_b32 v44, v48
	v_mov_b32_e32 v51, 1
	s_delay_alu instid0(VALU_DEP_3)
	v_mov_b32_e32 v3, v43
; %bb.56:                               ;   in Loop: Header=BB134_6 Depth=1
	s_or_b32 exec_lo, exec_lo, s8
	s_delay_alu instid0(VALU_DEP_2)
	v_lshl_add_u32 v43, v51, 2, v47
	v_add_nc_u32_e32 v45, v51, v48
	s_mov_b32 s7, exec_lo
	ds_load_b32 v47, v43
                                        ; implicit-def: $vgpr43
	s_waitcnt lgkmcnt(0)
	v_cmpx_nlt_f32_e32 v47, v1
	s_xor_b32 s7, exec_lo, s7
; %bb.57:                               ;   in Loop: Header=BB134_6 Depth=1
	v_cmp_eq_u32_e32 vcc_lo, 0, v44
                                        ; implicit-def: $vgpr39
                                        ; implicit-def: $vgpr3
	v_cndmask_b32_e32 v0, v46, v2, vcc_lo
	s_delay_alu instid0(VALU_DEP_1) | instskip(NEXT) | instid1(VALU_DEP_1)
	v_add_f32_e32 v0, v47, v0
                                        ; implicit-def: $vgpr47
	v_mul_f32_e32 v0, 0.5, v0
	s_delay_alu instid0(VALU_DEP_1)
	v_cmp_gt_f32_e32 vcc_lo, v0, v1
                                        ; implicit-def: $vgpr0_vgpr1
                                        ; implicit-def: $vgpr1
	v_cndmask_b32_e32 v43, v45, v44, vcc_lo
                                        ; implicit-def: $vgpr45
; %bb.58:                               ;   in Loop: Header=BB134_6 Depth=1
	s_and_not1_saveexec_b32 s7, s7
; %bb.59:                               ;   in Loop: Header=BB134_6 Depth=1
	v_cmp_eq_u32_e32 vcc_lo, 0xff, v39
	v_cndmask_b32_e32 v0, v3, v0, vcc_lo
	s_delay_alu instid0(VALU_DEP_1) | instskip(NEXT) | instid1(VALU_DEP_1)
	v_add_f32_e32 v0, v47, v0
	v_mul_f32_e32 v0, 0.5, v0
	s_delay_alu instid0(VALU_DEP_1)
	v_cmp_lt_f32_e32 vcc_lo, v0, v1
	v_cndmask_b32_e32 v43, v45, v39, vcc_lo
; %bb.60:                               ;   in Loop: Header=BB134_6 Depth=1
	s_or_b32 exec_lo, exec_lo, s7
	s_barrier
	buffer_gl0_inv
	ds_store_b8 v30, v40 offset:8448
	ds_store_b8 v30, v42 offset:8449
	;; [unrolled: 1-line block ×4, first 2 shown]
	; wave barrier
	ds_load_u8 v39, v12 offset:8448
	ds_load_u8 v3, v31 offset:8448
	;; [unrolled: 1-line block ×3, first 2 shown]
	v_add_co_u32 v0, vcc_lo, v33, s16
	v_add_co_ci_u32_e32 v1, vcc_lo, s17, v34, vcc_lo
	s_and_saveexec_b32 s7, s3
	s_delay_alu instid0(SALU_CYCLE_1)
	s_xor_b32 s3, exec_lo, s7
	s_cbranch_execnz .LBB134_64
; %bb.61:                               ;   in Loop: Header=BB134_6 Depth=1
	s_or_b32 exec_lo, exec_lo, s3
	s_and_saveexec_b32 s3, s4
	s_cbranch_execnz .LBB134_65
.LBB134_62:                             ;   in Loop: Header=BB134_6 Depth=1
	s_or_b32 exec_lo, exec_lo, s3
	s_and_saveexec_b32 s3, s5
	s_cbranch_execnz .LBB134_66
.LBB134_63:                             ;   in Loop: Header=BB134_6 Depth=1
	s_or_b32 exec_lo, exec_lo, s3
	s_and_saveexec_b32 s3, s6
	s_cbranch_execz .LBB134_5
	s_branch .LBB134_67
.LBB134_64:                             ;   in Loop: Header=BB134_6 Depth=1
	ds_load_u8 v40, v11 offset:8448
	s_waitcnt lgkmcnt(0)
	global_store_b8 v[0:1], v40, off
	s_or_b32 exec_lo, exec_lo, s3
	s_and_saveexec_b32 s3, s4
	s_cbranch_execz .LBB134_62
.LBB134_65:                             ;   in Loop: Header=BB134_6 Depth=1
	s_waitcnt lgkmcnt(2)
	global_store_b8 v[0:1], v39, off offset:32
	s_or_b32 exec_lo, exec_lo, s3
	s_and_saveexec_b32 s3, s5
	s_cbranch_execz .LBB134_63
.LBB134_66:                             ;   in Loop: Header=BB134_6 Depth=1
	s_waitcnt lgkmcnt(1)
	global_store_b8 v[0:1], v3, off offset:64
	s_or_b32 exec_lo, exec_lo, s3
	s_and_saveexec_b32 s3, s6
	s_cbranch_execz .LBB134_5
.LBB134_67:                             ;   in Loop: Header=BB134_6 Depth=1
	s_waitcnt lgkmcnt(0)
	global_store_b8 v[0:1], v2, off offset:96
	s_branch .LBB134_5
.LBB134_68:
	s_nop 0
	s_sendmsg sendmsg(MSG_DEALLOC_VGPRS)
	s_endpgm
	.section	.rodata,"a",@progbits
	.p2align	6, 0x0
	.amdhsa_kernel _Z18kQuantizeBlockwiseI12hip_bfloat16Li4096ELi4ELi0ELi0EEvPfPT_S1_PhS1_ii
		.amdhsa_group_segment_fixed_size 13828
		.amdhsa_private_segment_fixed_size 0
		.amdhsa_kernarg_size 304
		.amdhsa_user_sgpr_count 15
		.amdhsa_user_sgpr_dispatch_ptr 0
		.amdhsa_user_sgpr_queue_ptr 0
		.amdhsa_user_sgpr_kernarg_segment_ptr 1
		.amdhsa_user_sgpr_dispatch_id 0
		.amdhsa_user_sgpr_private_segment_size 0
		.amdhsa_wavefront_size32 1
		.amdhsa_uses_dynamic_stack 0
		.amdhsa_enable_private_segment 0
		.amdhsa_system_sgpr_workgroup_id_x 1
		.amdhsa_system_sgpr_workgroup_id_y 0
		.amdhsa_system_sgpr_workgroup_id_z 0
		.amdhsa_system_sgpr_workgroup_info 0
		.amdhsa_system_vgpr_workitem_id 0
		.amdhsa_next_free_vgpr 55
		.amdhsa_next_free_sgpr 20
		.amdhsa_reserve_vcc 1
		.amdhsa_float_round_mode_32 0
		.amdhsa_float_round_mode_16_64 0
		.amdhsa_float_denorm_mode_32 3
		.amdhsa_float_denorm_mode_16_64 3
		.amdhsa_dx10_clamp 1
		.amdhsa_ieee_mode 1
		.amdhsa_fp16_overflow 0
		.amdhsa_workgroup_processor_mode 1
		.amdhsa_memory_ordered 1
		.amdhsa_forward_progress 0
		.amdhsa_shared_vgpr_count 0
		.amdhsa_exception_fp_ieee_invalid_op 0
		.amdhsa_exception_fp_denorm_src 0
		.amdhsa_exception_fp_ieee_div_zero 0
		.amdhsa_exception_fp_ieee_overflow 0
		.amdhsa_exception_fp_ieee_underflow 0
		.amdhsa_exception_fp_ieee_inexact 0
		.amdhsa_exception_int_div_zero 0
	.end_amdhsa_kernel
	.section	.text._Z18kQuantizeBlockwiseI12hip_bfloat16Li4096ELi4ELi0ELi0EEvPfPT_S1_PhS1_ii,"axG",@progbits,_Z18kQuantizeBlockwiseI12hip_bfloat16Li4096ELi4ELi0ELi0EEvPfPT_S1_PhS1_ii,comdat
.Lfunc_end134:
	.size	_Z18kQuantizeBlockwiseI12hip_bfloat16Li4096ELi4ELi0ELi0EEvPfPT_S1_PhS1_ii, .Lfunc_end134-_Z18kQuantizeBlockwiseI12hip_bfloat16Li4096ELi4ELi0ELi0EEvPfPT_S1_PhS1_ii
                                        ; -- End function
	.section	.AMDGPU.csdata,"",@progbits
; Kernel info:
; codeLenInByte = 4260
; NumSgprs: 22
; NumVgprs: 55
; ScratchSize: 0
; MemoryBound: 0
; FloatMode: 240
; IeeeMode: 1
; LDSByteSize: 13828 bytes/workgroup (compile time only)
; SGPRBlocks: 2
; VGPRBlocks: 6
; NumSGPRsForWavesPerEU: 22
; NumVGPRsForWavesPerEU: 55
; Occupancy: 16
; WaveLimiterHint : 0
; COMPUTE_PGM_RSRC2:SCRATCH_EN: 0
; COMPUTE_PGM_RSRC2:USER_SGPR: 15
; COMPUTE_PGM_RSRC2:TRAP_HANDLER: 0
; COMPUTE_PGM_RSRC2:TGID_X_EN: 1
; COMPUTE_PGM_RSRC2:TGID_Y_EN: 0
; COMPUTE_PGM_RSRC2:TGID_Z_EN: 0
; COMPUTE_PGM_RSRC2:TIDIG_COMP_CNT: 0
	.section	.text._Z18kQuantizeBlockwiseI12hip_bfloat16Li4096ELi4ELi1ELi0EEvPfPT_S1_PhS1_ii,"axG",@progbits,_Z18kQuantizeBlockwiseI12hip_bfloat16Li4096ELi4ELi1ELi0EEvPfPT_S1_PhS1_ii,comdat
